;; amdgpu-corpus repo=ROCm/rocm-examples kind=compiled arch=gfx1100 opt=O3
	.text
	.amdgcn_target "amdgcn-amd-amdhsa--gfx1100"
	.amdhsa_code_object_version 6
	.protected	_Z14gemm_rocwmma_djjjPKdS0_S0_Pdjjjjdd ; -- Begin function _Z14gemm_rocwmma_djjjPKdS0_S0_Pdjjjjdd
	.globl	_Z14gemm_rocwmma_djjjPKdS0_S0_Pdjjjjdd
	.p2align	8
	.type	_Z14gemm_rocwmma_djjjPKdS0_S0_Pdjjjjdd,@function
_Z14gemm_rocwmma_djjjPKdS0_S0_Pdjjjjdd: ; @_Z14gemm_rocwmma_djjjPKdS0_S0_Pdjjjjdd
; %bb.0:
	s_load_b128 s[16:19], s[0:1], 0x0
	v_and_b32_e32 v4, 0x3ff, v0
	v_bfe_u32 v0, v0, 10, 10
	s_lshl_b32 s20, s14, 7
	s_lshl_b32 s22, s15, 6
	s_delay_alu instid0(VALU_DEP_2) | instskip(NEXT) | instid1(VALU_DEP_2)
	v_and_b32_e32 v1, 0xe0, v4
	v_lshl_add_u32 v66, v0, 5, s22
	s_delay_alu instid0(VALU_DEP_2) | instskip(NEXT) | instid1(VALU_DEP_2)
	v_add_nc_u32_e32 v70, s20, v1
	v_add_nc_u32_e32 v2, 32, v66
	s_delay_alu instid0(VALU_DEP_2) | instskip(SKIP_1) | instid1(VALU_DEP_2)
	v_add_nc_u32_e32 v1, 32, v70
	s_waitcnt lgkmcnt(0)
	v_cmp_ge_u32_e64 s2, s17, v2
	s_delay_alu instid0(VALU_DEP_2) | instskip(NEXT) | instid1(VALU_DEP_2)
	v_cmp_ge_u32_e32 vcc_lo, s16, v1
	s_and_b32 s2, vcc_lo, s2
	s_delay_alu instid0(SALU_CYCLE_1)
	s_and_saveexec_b32 s3, s2
	s_cbranch_execz .LBB0_5
; %bb.1:
	s_load_b128 s[12:15], s[0:1], 0x30
	v_lshrrev_b32_e32 v1, 4, v4
	v_lshlrev_b32_e32 v2, 3, v4
	v_bfe_u32 v3, v4, 4, 1
	s_load_b256 s[4:11], s[0:1], 0x10
	s_mov_b32 s21, 0
	v_and_b32_e32 v1, 62, v1
	v_and_b32_e32 v5, 0x78, v2
	s_lshl_b64 s[2:3], s[20:21], 3
	s_mov_b32 s23, s21
	s_delay_alu instid0(VALU_DEP_2) | instskip(SKIP_1) | instid1(VALU_DEP_2)
	v_add_nc_u32_e32 v0, v1, v0
	v_lshlrev_b32_e32 v1, 2, v4
	v_lshl_or_b32 v31, v0, 1, v3
	s_delay_alu instid0(VALU_DEP_2) | instskip(NEXT) | instid1(VALU_DEP_2)
	v_and_b32_e32 v6, 60, v1
	v_mul_u32_u24_e32 v32, 0xc0, v31
	s_waitcnt lgkmcnt(0)
	s_delay_alu instid0(VALU_DEP_2) | instskip(SKIP_4) | instid1(VALU_DEP_2)
	v_mad_u64_u32 v[64:65], null, v31, s12, v[5:6]
	v_mov_b32_e32 v65, 0
	v_mad_u64_u32 v[2:3], null, v31, s13, v[6:7]
	s_add_u32 s16, s4, s2
	s_addc_u32 s17, s5, s3
	v_mov_b32_e32 v3, v65
	s_delay_alu instid0(VALU_DEP_4)
	v_lshlrev_b64 v[0:1], 3, v[64:65]
	s_lshl_b64 s[2:3], s[22:23], 3
	v_mad_u32_u24 v5, 0xc0, v31, v5
	s_add_u32 s2, s6, s2
	v_lshlrev_b64 v[2:3], 3, v[2:3]
	s_addc_u32 s3, s7, s3
	v_add_co_u32 v19, vcc_lo, s16, v0
	v_add_co_ci_u32_e32 v20, vcc_lo, s17, v1, vcc_lo
	s_delay_alu instid0(VALU_DEP_3) | instskip(NEXT) | instid1(VALU_DEP_4)
	v_add_co_u32 v27, vcc_lo, s2, v2
	v_add_co_ci_u32_e32 v28, vcc_lo, s3, v3, vcc_lo
	s_clause 0x3
	global_load_b128 v[7:10], v[19:20], off offset:48
	global_load_b128 v[11:14], v[19:20], off offset:32
	;; [unrolled: 1-line block ×3, first 2 shown]
	global_load_b128 v[19:22], v[19:20], off
	s_clause 0x1
	global_load_b128 v[23:26], v[27:28], off offset:16
	global_load_b128 v[27:30], v[27:28], off
	v_or_b32_e32 v6, v32, v6
	v_lshl_add_u32 v31, v5, 3, 0
	s_cmp_lt_u32 s18, 17
	s_delay_alu instid0(VALU_DEP_2)
	v_lshl_add_u32 v32, v6, 3, 0
	s_waitcnt vmcnt(5)
	ds_store_b128 v31, v[7:10] offset:48
	s_waitcnt vmcnt(4)
	ds_store_b128 v31, v[11:14] offset:32
	;; [unrolled: 2-line block ×3, first 2 shown]
	s_waitcnt vmcnt(2)
	ds_store_b128 v31, v[19:22]
	s_waitcnt vmcnt(1)
	ds_store_b128 v32, v[23:26] offset:1040
	s_waitcnt vmcnt(0)
	ds_store_b128 v32, v[27:30] offset:1024
	s_waitcnt lgkmcnt(0)
	s_barrier
	buffer_gl0_inv
	s_cbranch_scc1 .LBB0_4
; %bb.2:
	v_add_co_u32 v0, vcc_lo, s4, v0
	v_add_co_ci_u32_e32 v1, vcc_lo, s5, v1, vcc_lo
	v_add_co_u32 v2, vcc_lo, s6, v2
	v_add_co_ci_u32_e32 v3, vcc_lo, s7, v3, vcc_lo
	s_lshl_b32 s12, s12, 4
	s_lshl_b32 s13, s13, 4
	s_add_i32 s20, s20, s12
	s_add_i32 s5, 0, 0x6000
	;; [unrolled: 1-line block ×3, first 2 shown]
	s_mov_b32 s4, 16
	s_mov_b32 s6, s21
	s_set_inst_prefetch_distance 0x1
	.p2align	6
.LBB0_3:                                ; =>This Inner Loop Header: Depth=1
	s_lshl_b64 s[16:17], s[20:21], 3
	s_mov_b32 s3, s21
	v_add_co_u32 v19, vcc_lo, v0, s16
	v_add_co_ci_u32_e32 v20, vcc_lo, s17, v1, vcc_lo
	s_lshl_b64 s[16:17], s[2:3], 3
	v_lshl_add_u32 v31, v5, 3, s5
	v_add_co_u32 v27, vcc_lo, v2, s16
	v_add_co_ci_u32_e32 v28, vcc_lo, s17, v3, vcc_lo
	s_clause 0x3
	global_load_b128 v[7:10], v[19:20], off offset:48
	global_load_b128 v[11:14], v[19:20], off offset:32
	;; [unrolled: 1-line block ×3, first 2 shown]
	global_load_b128 v[19:22], v[19:20], off
	s_clause 0x1
	global_load_b128 v[23:26], v[27:28], off offset:16
	global_load_b128 v[27:30], v[27:28], off
	s_mov_b32 s3, s6
	s_add_i32 s4, s4, 16
	s_add_i32 s20, s20, s12
	;; [unrolled: 1-line block ×3, first 2 shown]
	v_lshl_add_u32 v32, v6, 3, s5
	s_mov_b32 s6, s5
	s_mov_b32 s5, s3
	s_cmp_ge_u32 s4, s18
	s_waitcnt vmcnt(5)
	ds_store_b128 v31, v[7:10] offset:48
	s_waitcnt vmcnt(4)
	ds_store_b128 v31, v[11:14] offset:32
	;; [unrolled: 2-line block ×3, first 2 shown]
	s_waitcnt vmcnt(2)
	ds_store_b128 v31, v[19:22]
	s_waitcnt vmcnt(1)
	ds_store_b128 v32, v[23:26] offset:1040
	s_waitcnt vmcnt(0)
	ds_store_b128 v32, v[27:30] offset:1024
	s_waitcnt lgkmcnt(0)
	s_barrier
	buffer_gl0_inv
	s_cbranch_scc0 .LBB0_3
.LBB0_4:
	s_set_inst_prefetch_distance 0x2
	s_load_b128 s[0:3], s[0:1], 0x40
	v_lshlrev_b32_e32 v0, 1, v4
	v_and_b32_e32 v71, 16, v4
	s_delay_alu instid0(VALU_DEP_2) | instskip(SKIP_2) | instid1(VALU_DEP_3)
	v_and_b32_e32 v69, 30, v0
	v_mad_u64_u32 v[0:1], null, v70, s14, v[66:67]
	v_mov_b32_e32 v1, v65
	v_mad_u64_u32 v[2:3], null, v71, s14, v[69:70]
	v_mov_b32_e32 v3, v65
	v_mad_u64_u32 v[74:75], null, v71, s15, v[69:70]
	s_delay_alu instid0(VALU_DEP_4) | instskip(NEXT) | instid1(VALU_DEP_4)
	v_lshlrev_b64 v[0:1], 3, v[0:1]
	v_dual_mov_b32 v75, v65 :: v_dual_add_nc_u32 v64, s14, v2
	s_waitcnt lgkmcnt(0)
	v_mul_f64 v[67:68], s[0:1], 0
	v_lshlrev_b64 v[3:4], 3, v[2:3]
	s_delay_alu instid0(VALU_DEP_4) | instskip(SKIP_1) | instid1(VALU_DEP_2)
	v_add_co_u32 v26, vcc_lo, s8, v0
	v_add_co_ci_u32_e32 v27, vcc_lo, s9, v1, vcc_lo
	v_add_co_u32 v0, vcc_lo, v26, v3
	s_delay_alu instid0(VALU_DEP_2)
	v_add_co_ci_u32_e32 v1, vcc_lo, v27, v4, vcc_lo
	v_lshlrev_b64 v[2:3], 3, v[64:65]
	v_add_nc_u32_e32 v64, s14, v64
	global_load_b128 v[56:59], v[0:1], off
	v_mad_u64_u32 v[72:73], null, v70, s15, v[66:67]
	v_mov_b32_e32 v73, v65
	v_lshlrev_b64 v[0:1], 3, v[64:65]
	v_add_nc_u32_e32 v64, s14, v64
	v_lshlrev_b64 v[70:71], 3, v[74:75]
	s_delay_alu instid0(VALU_DEP_4) | instskip(NEXT) | instid1(VALU_DEP_4)
	v_lshlrev_b64 v[72:73], 3, v[72:73]
	v_add_co_u32 v0, vcc_lo, v26, v0
	v_add_co_ci_u32_e32 v1, vcc_lo, v27, v1, vcc_lo
	global_load_b128 v[60:63], v[0:1], off
	v_add_co_u32 v0, vcc_lo, v26, v2
	v_add_co_ci_u32_e32 v1, vcc_lo, v27, v3, vcc_lo
	v_lshlrev_b64 v[2:3], 3, v[64:65]
	v_add_nc_u32_e32 v64, s14, v64
	global_load_b128 v[48:51], v[0:1], off
	v_add_co_u32 v0, vcc_lo, v26, v2
	v_add_co_ci_u32_e32 v1, vcc_lo, v27, v3, vcc_lo
	global_load_b128 v[52:55], v[0:1], off
	v_lshlrev_b64 v[0:1], 3, v[64:65]
	v_add_nc_u32_e32 v64, s14, v64
	s_delay_alu instid0(VALU_DEP_2) | instskip(NEXT) | instid1(VALU_DEP_3)
	v_add_co_u32 v0, vcc_lo, v26, v0
	v_add_co_ci_u32_e32 v1, vcc_lo, v27, v1, vcc_lo
	global_load_b128 v[12:15], v[0:1], off
	v_lshlrev_b64 v[0:1], 3, v[64:65]
	v_add_nc_u32_e32 v64, s14, v64
	s_delay_alu instid0(VALU_DEP_1) | instskip(NEXT) | instid1(VALU_DEP_3)
	v_lshlrev_b64 v[2:3], 3, v[64:65]
	v_add_co_u32 v0, vcc_lo, v26, v0
	s_delay_alu instid0(VALU_DEP_4) | instskip(SKIP_1) | instid1(VALU_DEP_4)
	v_add_co_ci_u32_e32 v1, vcc_lo, v27, v1, vcc_lo
	v_add_nc_u32_e32 v64, s14, v64
	v_add_co_u32 v2, vcc_lo, v26, v2
	v_add_co_ci_u32_e32 v3, vcc_lo, v27, v3, vcc_lo
	s_clause 0x1
	global_load_b128 v[16:19], v[0:1], off
	global_load_b128 v[32:35], v[2:3], off
	v_lshlrev_b64 v[0:1], 3, v[64:65]
	v_add_nc_u32_e32 v64, s14, v64
	s_delay_alu instid0(VALU_DEP_1) | instskip(SKIP_1) | instid1(VALU_DEP_4)
	v_lshlrev_b64 v[2:3], 3, v[64:65]
	v_add_nc_u32_e32 v64, s14, v64
	v_add_co_u32 v0, vcc_lo, v26, v0
	v_add_co_ci_u32_e32 v1, vcc_lo, v27, v1, vcc_lo
	s_delay_alu instid0(VALU_DEP_4) | instskip(NEXT) | instid1(VALU_DEP_4)
	v_add_co_u32 v2, vcc_lo, v26, v2
	v_lshlrev_b64 v[4:5], 3, v[64:65]
	v_add_co_ci_u32_e32 v3, vcc_lo, v27, v3, vcc_lo
	v_add_nc_u32_e32 v64, s14, v64
	s_clause 0x1
	global_load_b128 v[36:39], v[0:1], off
	global_load_b128 v[20:23], v[2:3], off
	v_add_co_u32 v0, vcc_lo, v26, v4
	v_lshlrev_b64 v[2:3], 3, v[64:65]
	v_add_co_ci_u32_e32 v1, vcc_lo, v27, v5, vcc_lo
	v_add_nc_u32_e32 v64, s14, v64
	global_load_b128 v[8:11], v[0:1], off
	v_add_co_u32 v0, vcc_lo, v26, v2
	v_add_co_ci_u32_e32 v1, vcc_lo, v27, v3, vcc_lo
	v_lshlrev_b64 v[2:3], 3, v[64:65]
	v_add_nc_u32_e32 v64, s14, v64
	global_load_b128 v[44:47], v[0:1], off
	v_add_co_u32 v0, vcc_lo, v26, v2
	v_add_co_ci_u32_e32 v1, vcc_lo, v27, v3, vcc_lo
	v_lshlrev_b64 v[2:3], 3, v[64:65]
	;; [unrolled: 5-line block ×3, first 2 shown]
	v_add_nc_u32_e32 v64, s14, v64
	global_load_b128 v[4:7], v[0:1], off
	v_lshlrev_b64 v[0:1], 3, v[64:65]
	v_add_co_u32 v2, vcc_lo, v26, v2
	v_add_co_ci_u32_e32 v3, vcc_lo, v27, v3, vcc_lo
	v_add_nc_u32_e32 v64, s14, v64
	s_delay_alu instid0(VALU_DEP_4)
	v_add_co_u32 v24, vcc_lo, v26, v0
	v_add_co_ci_u32_e32 v25, vcc_lo, v27, v1, vcc_lo
	s_clause 0x1
	global_load_b128 v[0:3], v[2:3], off
	global_load_b128 v[40:43], v[24:25], off
	v_lshlrev_b64 v[24:25], 3, v[64:65]
	v_add_nc_u32_e32 v64, s15, v74
	s_delay_alu instid0(VALU_DEP_2) | instskip(NEXT) | instid1(VALU_DEP_3)
	v_add_co_u32 v24, vcc_lo, v26, v24
	v_add_co_ci_u32_e32 v25, vcc_lo, v27, v25, vcc_lo
	v_add_co_u32 v66, vcc_lo, s10, v72
	v_add_co_ci_u32_e32 v69, vcc_lo, s11, v73, vcc_lo
	global_load_b128 v[24:27], v[24:25], off
	v_add_co_u32 v70, vcc_lo, v66, v70
	v_add_co_ci_u32_e32 v71, vcc_lo, v69, v71, vcc_lo
	s_waitcnt vmcnt(15)
	ds_swizzle_b32 v76, v56 offset:50688
	ds_swizzle_b32 v77, v57 offset:50688
	;; [unrolled: 1-line block ×4, first 2 shown]
	s_waitcnt vmcnt(14)
	ds_swizzle_b32 v72, v60 offset:50688
	ds_swizzle_b32 v73, v61 offset:50688
	;; [unrolled: 1-line block ×4, first 2 shown]
	s_waitcnt lgkmcnt(7)
	v_mov_b32_dpp v60, v76 quad_perm:[0,1,2,3] row_mask:0x5 bank_mask:0xf
	s_waitcnt lgkmcnt(6)
	v_mov_b32_dpp v61, v77 quad_perm:[0,1,2,3] row_mask:0x5 bank_mask:0xf
	;; [unrolled: 2-line block ×4, first 2 shown]
	s_waitcnt vmcnt(13)
	ds_swizzle_b32 v82, v48 offset:50688
	ds_swizzle_b32 v83, v49 offset:50688
	v_fma_f64 v[60:61], v[60:61], s[2:3], v[67:68]
	ds_swizzle_b32 v84, v50 offset:50688
	v_fma_f64 v[62:63], v[62:63], s[2:3], v[67:68]
	ds_swizzle_b32 v85, v51 offset:50688
	v_lshlrev_b64 v[76:77], 3, v[64:65]
	v_add_nc_u32_e32 v64, s15, v64
	s_waitcnt vmcnt(12)
	ds_swizzle_b32 v78, v52 offset:50688
	ds_swizzle_b32 v79, v53 offset:50688
	s_waitcnt lgkmcnt(9)
	v_mov_b32_dpp v72, v56 quad_perm:[0,1,2,3] row_mask:0x5 bank_mask:0xf
	s_waitcnt lgkmcnt(8)
	v_mov_b32_dpp v73, v57 quad_perm:[0,1,2,3] row_mask:0x5 bank_mask:0xf
	;; [unrolled: 2-line block ×4, first 2 shown]
	ds_swizzle_b32 v80, v54 offset:50688
	ds_swizzle_b32 v81, v55 offset:50688
	v_fma_f64 v[58:59], v[72:73], s[2:3], v[67:68]
	v_lshlrev_b64 v[56:57], 3, v[64:65]
	s_waitcnt lgkmcnt(7)
	v_mov_b32_dpp v52, v82 quad_perm:[0,1,2,3] row_mask:0x5 bank_mask:0xf
	v_fma_f64 v[72:73], v[74:75], s[2:3], v[67:68]
	s_waitcnt lgkmcnt(6)
	v_mov_b32_dpp v53, v83 quad_perm:[0,1,2,3] row_mask:0x5 bank_mask:0xf
	s_waitcnt lgkmcnt(5)
	v_mov_b32_dpp v54, v84 quad_perm:[0,1,2,3] row_mask:0x5 bank_mask:0xf
	v_add_nc_u32_e32 v64, s15, v64
	s_waitcnt lgkmcnt(4)
	v_mov_b32_dpp v55, v85 quad_perm:[0,1,2,3] row_mask:0x5 bank_mask:0xf
	v_add_co_u32 v74, vcc_lo, v66, v76
	v_fma_f64 v[52:53], v[52:53], s[2:3], v[67:68]
	s_waitcnt vmcnt(11)
	ds_swizzle_b32 v86, v12 offset:50688
	v_fma_f64 v[54:55], v[54:55], s[2:3], v[67:68]
	s_waitcnt lgkmcnt(4)
	v_mov_b32_dpp v78, v48 quad_perm:[0,1,2,3] row_mask:0x5 bank_mask:0xf
	s_waitcnt lgkmcnt(3)
	v_mov_b32_dpp v79, v49 quad_perm:[0,1,2,3] row_mask:0x5 bank_mask:0xf
	ds_swizzle_b32 v87, v13 offset:50688
	ds_swizzle_b32 v88, v14 offset:50688
	;; [unrolled: 1-line block ×3, first 2 shown]
	s_waitcnt lgkmcnt(5)
	v_mov_b32_dpp v80, v50 quad_perm:[0,1,2,3] row_mask:0x5 bank_mask:0xf
	s_waitcnt lgkmcnt(4)
	v_mov_b32_dpp v81, v51 quad_perm:[0,1,2,3] row_mask:0x5 bank_mask:0xf
	v_fma_f64 v[78:79], v[78:79], s[2:3], v[67:68]
	v_add_co_ci_u32_e32 v75, vcc_lo, v69, v77, vcc_lo
	ds_swizzle_b32 v48, v60 offset:50688
	ds_swizzle_b32 v49, v61 offset:50688
	;; [unrolled: 1-line block ×4, first 2 shown]
	v_fma_f64 v[80:81], v[80:81], s[2:3], v[67:68]
	v_lshlrev_b64 v[76:77], 3, v[64:65]
	v_add_nc_u32_e32 v64, s15, v64
	s_waitcnt vmcnt(10)
	ds_swizzle_b32 v90, v16 offset:50688
	ds_swizzle_b32 v91, v17 offset:50688
	v_add_co_u32 v56, vcc_lo, v66, v56
	v_lshlrev_b64 v[82:83], 3, v[64:65]
	v_add_nc_u32_e32 v64, s15, v64
	v_add_co_ci_u32_e32 v57, vcc_lo, v69, v57, vcc_lo
	v_add_co_u32 v76, vcc_lo, v66, v76
	s_delay_alu instid0(VALU_DEP_3)
	v_lshlrev_b64 v[84:85], 3, v[64:65]
	v_add_co_ci_u32_e32 v77, vcc_lo, v69, v77, vcc_lo
	s_waitcnt lgkmcnt(5)
	v_mov_b32_dpp v48, v58 quad_perm:[0,1,2,3] row_mask:0x5 bank_mask:0xf
	s_waitcnt lgkmcnt(4)
	v_mov_b32_dpp v49, v59 quad_perm:[0,1,2,3] row_mask:0x5 bank_mask:0xf
	s_waitcnt lgkmcnt(3)
	v_mov_b32_dpp v50, v72 quad_perm:[0,1,2,3] row_mask:0x5 bank_mask:0xf
	s_waitcnt lgkmcnt(2)
	v_mov_b32_dpp v51, v73 quad_perm:[0,1,2,3] row_mask:0x5 bank_mask:0xf
	v_add_co_u32 v82, vcc_lo, v66, v82
	v_add_co_ci_u32_e32 v83, vcc_lo, v69, v83, vcc_lo
	global_store_b128 v[70:71], v[48:51], off
	ds_swizzle_b32 v48, v52 offset:50688
	ds_swizzle_b32 v49, v53 offset:50688
	;; [unrolled: 1-line block ×4, first 2 shown]
	v_add_co_u32 v70, vcc_lo, v66, v84
	v_add_co_ci_u32_e32 v71, vcc_lo, v69, v85, vcc_lo
	s_waitcnt vmcnt(9)
	ds_swizzle_b32 v84, v32 offset:50688
	ds_swizzle_b32 v85, v33 offset:50688
	v_mov_b32_dpp v32, v86 quad_perm:[0,1,2,3] row_mask:0x5 bank_mask:0xf
	v_mov_b32_dpp v33, v87 quad_perm:[0,1,2,3] row_mask:0x5 bank_mask:0xf
	ds_swizzle_b32 v86, v34 offset:50688
	v_mov_b32_dpp v34, v88 quad_perm:[0,1,2,3] row_mask:0x5 bank_mask:0xf
	ds_swizzle_b32 v88, v18 offset:50688
	ds_swizzle_b32 v87, v35 offset:50688
	v_mov_b32_dpp v35, v89 quad_perm:[0,1,2,3] row_mask:0x5 bank_mask:0xf
	ds_swizzle_b32 v89, v19 offset:50688
	s_waitcnt vmcnt(6)
	ds_swizzle_b32 v92, v10 offset:50688
	ds_swizzle_b32 v93, v11 offset:50688
	s_waitcnt lgkmcnt(11)
	v_mov_b32_dpp v48, v78 quad_perm:[0,1,2,3] row_mask:0x5 bank_mask:0xf
	s_waitcnt lgkmcnt(10)
	v_mov_b32_dpp v49, v79 quad_perm:[0,1,2,3] row_mask:0x5 bank_mask:0xf
	;; [unrolled: 2-line block ×4, first 2 shown]
	v_add_nc_u32_e32 v64, s15, v64
	v_fma_f64 v[32:33], v[32:33], s[2:3], v[67:68]
	v_fma_f64 v[34:35], v[34:35], s[2:3], v[67:68]
	ds_swizzle_b32 v96, v78 offset:50688
	global_store_b128 v[74:75], v[48:51], off
	ds_swizzle_b32 v48, v36 offset:50688
	ds_swizzle_b32 v49, v37 offset:50688
	v_mov_b32_dpp v36, v90 quad_perm:[0,1,2,3] row_mask:0x5 bank_mask:0xf
	ds_swizzle_b32 v90, v22 offset:50688
	v_mov_b32_dpp v37, v91 quad_perm:[0,1,2,3] row_mask:0x5 bank_mask:0xf
	ds_swizzle_b32 v91, v23 offset:50688
	ds_swizzle_b32 v50, v38 offset:50688
	;; [unrolled: 1-line block ×5, first 2 shown]
	s_waitcnt lgkmcnt(13)
	v_mov_b32_dpp v38, v88 quad_perm:[0,1,2,3] row_mask:0x5 bank_mask:0xf
	ds_swizzle_b32 v88, v8 offset:50688
	s_waitcnt lgkmcnt(12)
	v_mov_b32_dpp v39, v89 quad_perm:[0,1,2,3] row_mask:0x5 bank_mask:0xf
	ds_swizzle_b32 v89, v9 offset:50688
	v_mov_b32_dpp v84, v12 quad_perm:[0,1,2,3] row_mask:0x5 bank_mask:0xf
	v_mov_b32_dpp v85, v13 quad_perm:[0,1,2,3] row_mask:0x5 bank_mask:0xf
	;; [unrolled: 1-line block ×4, first 2 shown]
	v_fma_f64 v[12:13], v[36:37], s[2:3], v[67:68]
	v_fma_f64 v[14:15], v[38:39], s[2:3], v[67:68]
	s_waitcnt vmcnt(5)
	ds_swizzle_b32 v36, v44 offset:50688
	ds_swizzle_b32 v37, v45 offset:50688
	;; [unrolled: 1-line block ×4, first 2 shown]
	s_waitcnt lgkmcnt(11)
	v_mov_b32_dpp v46, v90 quad_perm:[0,1,2,3] row_mask:0x5 bank_mask:0xf
	s_waitcnt lgkmcnt(10)
	v_mov_b32_dpp v47, v91 quad_perm:[0,1,2,3] row_mask:0x5 bank_mask:0xf
	s_waitcnt vmcnt(3)
	ds_swizzle_b32 v90, v4 offset:50688
	ds_swizzle_b32 v91, v5 offset:50688
	s_waitcnt lgkmcnt(9)
	v_mov_b32_dpp v44, v74 quad_perm:[0,1,2,3] row_mask:0x5 bank_mask:0xf
	s_waitcnt lgkmcnt(8)
	v_mov_b32_dpp v45, v75 quad_perm:[0,1,2,3] row_mask:0x5 bank_mask:0xf
	ds_swizzle_b32 v74, v28 offset:50688
	ds_swizzle_b32 v75, v29 offset:50688
	s_waitcnt lgkmcnt(9)
	v_mov_b32_dpp v28, v88 quad_perm:[0,1,2,3] row_mask:0x5 bank_mask:0xf
	ds_swizzle_b32 v88, v6 offset:50688
	s_waitcnt lgkmcnt(9)
	v_mov_b32_dpp v29, v89 quad_perm:[0,1,2,3] row_mask:0x5 bank_mask:0xf
	ds_swizzle_b32 v89, v7 offset:50688
	v_mov_b32_dpp v48, v16 quad_perm:[0,1,2,3] row_mask:0x5 bank_mask:0xf
	v_mov_b32_dpp v49, v17 quad_perm:[0,1,2,3] row_mask:0x5 bank_mask:0xf
	v_fma_f64 v[16:17], v[44:45], s[2:3], v[67:68]
	ds_swizzle_b32 v44, v30 offset:50688
	ds_swizzle_b32 v45, v31 offset:50688
	v_mov_b32_dpp v30, v92 quad_perm:[0,1,2,3] row_mask:0x5 bank_mask:0xf
	v_mov_b32_dpp v31, v93 quad_perm:[0,1,2,3] row_mask:0x5 bank_mask:0xf
	s_waitcnt lgkmcnt(11)
	v_mov_b32_dpp v36, v20 quad_perm:[0,1,2,3] row_mask:0x5 bank_mask:0xf
	s_waitcnt lgkmcnt(10)
	v_mov_b32_dpp v37, v21 quad_perm:[0,1,2,3] row_mask:0x5 bank_mask:0xf
	v_fma_f64 v[20:21], v[28:29], s[2:3], v[67:68]
	s_waitcnt vmcnt(2)
	ds_swizzle_b32 v92, v0 offset:50688
	ds_swizzle_b32 v93, v1 offset:50688
	s_waitcnt vmcnt(1)
	ds_swizzle_b32 v28, v40 offset:50688
	ds_swizzle_b32 v29, v41 offset:50688
	s_waitcnt lgkmcnt(11)
	v_mov_b32_dpp v40, v90 quad_perm:[0,1,2,3] row_mask:0x5 bank_mask:0xf
	s_waitcnt lgkmcnt(10)
	v_mov_b32_dpp v41, v91 quad_perm:[0,1,2,3] row_mask:0x5 bank_mask:0xf
	ds_swizzle_b32 v90, v2 offset:50688
	ds_swizzle_b32 v91, v3 offset:50688
	v_mov_b32_dpp v50, v18 quad_perm:[0,1,2,3] row_mask:0x5 bank_mask:0xf
	v_mov_b32_dpp v51, v19 quad_perm:[0,1,2,3] row_mask:0x5 bank_mask:0xf
	v_fma_f64 v[18:19], v[46:47], s[2:3], v[67:68]
	v_lshlrev_b64 v[46:47], 3, v[64:65]
	v_add_nc_u32_e32 v64, s15, v64
	v_mov_b32_dpp v38, v22 quad_perm:[0,1,2,3] row_mask:0x5 bank_mask:0xf
	v_mov_b32_dpp v39, v23 quad_perm:[0,1,2,3] row_mask:0x5 bank_mask:0xf
	v_fma_f64 v[22:23], v[30:31], s[2:3], v[67:68]
	ds_swizzle_b32 v30, v42 offset:50688
	s_waitcnt lgkmcnt(10)
	v_mov_b32_dpp v42, v88 quad_perm:[0,1,2,3] row_mask:0x5 bank_mask:0xf
	ds_swizzle_b32 v31, v43 offset:50688
	s_waitcnt lgkmcnt(10)
	v_mov_b32_dpp v43, v89 quad_perm:[0,1,2,3] row_mask:0x5 bank_mask:0xf
	v_mov_b32_dpp v74, v8 quad_perm:[0,1,2,3] row_mask:0x5 bank_mask:0xf
	;; [unrolled: 1-line block ×3, first 2 shown]
	v_fma_f64 v[8:9], v[40:41], s[2:3], v[67:68]
	v_lshlrev_b64 v[40:41], 3, v[64:65]
	v_add_nc_u32_e32 v64, s15, v64
	s_waitcnt lgkmcnt(9)
	v_mov_b32_dpp v44, v10 quad_perm:[0,1,2,3] row_mask:0x5 bank_mask:0xf
	s_waitcnt lgkmcnt(8)
	v_mov_b32_dpp v45, v11 quad_perm:[0,1,2,3] row_mask:0x5 bank_mask:0xf
	v_fma_f64 v[10:11], v[42:43], s[2:3], v[67:68]
	v_add_co_u32 v42, vcc_lo, v66, v46
	v_add_co_ci_u32_e32 v43, vcc_lo, v69, v47, vcc_lo
	s_waitcnt vmcnt(0)
	ds_swizzle_b32 v46, v24 offset:50688
	ds_swizzle_b32 v47, v25 offset:50688
	s_waitcnt lgkmcnt(9)
	v_mov_b32_dpp v24, v92 quad_perm:[0,1,2,3] row_mask:0x5 bank_mask:0xf
	s_waitcnt lgkmcnt(8)
	v_mov_b32_dpp v25, v93 quad_perm:[0,1,2,3] row_mask:0x5 bank_mask:0xf
	ds_swizzle_b32 v88, v26 offset:50688
	ds_swizzle_b32 v89, v27 offset:50688
	s_waitcnt lgkmcnt(7)
	v_mov_b32_dpp v26, v90 quad_perm:[0,1,2,3] row_mask:0x5 bank_mask:0xf
	s_waitcnt lgkmcnt(6)
	v_mov_b32_dpp v27, v91 quad_perm:[0,1,2,3] row_mask:0x5 bank_mask:0xf
	v_lshlrev_b64 v[90:91], 3, v[64:65]
	v_add_nc_u32_e32 v64, s15, v64
	v_add_co_u32 v40, vcc_lo, v66, v40
	v_mov_b32_dpp v28, v4 quad_perm:[0,1,2,3] row_mask:0x5 bank_mask:0xf
	v_mov_b32_dpp v29, v5 quad_perm:[0,1,2,3] row_mask:0x5 bank_mask:0xf
	v_fma_f64 v[4:5], v[24:25], s[2:3], v[67:68]
	v_lshlrev_b64 v[24:25], 3, v[64:65]
	v_add_co_ci_u32_e32 v41, vcc_lo, v69, v41, vcc_lo
	v_add_nc_u32_e32 v64, s15, v64
	v_add_co_u32 v90, vcc_lo, v66, v90
	v_add_co_ci_u32_e32 v91, vcc_lo, v69, v91, vcc_lo
	v_add_co_u32 v92, vcc_lo, v66, v24
	v_add_co_ci_u32_e32 v93, vcc_lo, v69, v25, vcc_lo
	v_lshlrev_b64 v[24:25], 3, v[64:65]
	s_waitcnt lgkmcnt(5)
	v_mov_b32_dpp v30, v6 quad_perm:[0,1,2,3] row_mask:0x5 bank_mask:0xf
	s_waitcnt lgkmcnt(4)
	v_mov_b32_dpp v31, v7 quad_perm:[0,1,2,3] row_mask:0x5 bank_mask:0xf
	v_fma_f64 v[6:7], v[26:27], s[2:3], v[67:68]
	ds_swizzle_b32 v26, v72 offset:50688
	ds_swizzle_b32 v27, v73 offset:50688
	v_add_co_u32 v94, vcc_lo, v66, v24
	v_add_co_ci_u32_e32 v95, vcc_lo, v69, v25, vcc_lo
	ds_swizzle_b32 v24, v58 offset:50688
	ds_swizzle_b32 v25, v59 offset:50688
	v_fma_f64 v[58:59], v[84:85], s[2:3], v[67:68]
	v_fma_f64 v[72:73], v[86:87], s[2:3], v[67:68]
	;; [unrolled: 1-line block ×7, first 2 shown]
	ds_swizzle_b32 v97, v79 offset:50688
	ds_swizzle_b32 v98, v80 offset:50688
	;; [unrolled: 1-line block ×3, first 2 shown]
	s_waitcnt lgkmcnt(10)
	v_mov_b32_dpp v46, v0 quad_perm:[0,1,2,3] row_mask:0x5 bank_mask:0xf
	s_waitcnt lgkmcnt(9)
	v_mov_b32_dpp v47, v1 quad_perm:[0,1,2,3] row_mask:0x5 bank_mask:0xf
	;; [unrolled: 2-line block ×4, first 2 shown]
	v_mov_b32_dpp v88, v2 quad_perm:[0,1,2,3] row_mask:0x5 bank_mask:0xf
	v_mov_b32_dpp v89, v3 quad_perm:[0,1,2,3] row_mask:0x5 bank_mask:0xf
	ds_swizzle_b32 v0, v32 offset:50688
	ds_swizzle_b32 v1, v33 offset:50688
	s_waitcnt lgkmcnt(6)
	v_mov_b32_dpp v60, v24 quad_perm:[0,1,2,3] row_mask:0x5 bank_mask:0xf
	s_waitcnt lgkmcnt(5)
	v_mov_b32_dpp v61, v25 quad_perm:[0,1,2,3] row_mask:0x5 bank_mask:0xf
	ds_swizzle_b32 v2, v34 offset:50688
	ds_swizzle_b32 v3, v35 offset:50688
	;; [unrolled: 1-line block ×6, first 2 shown]
	v_fma_f64 v[44:45], v[44:45], s[2:3], v[67:68]
	global_store_b128 v[56:57], v[60:63], off
	v_fma_f64 v[62:63], v[88:89], s[2:3], v[67:68]
	v_fma_f64 v[56:57], v[28:29], s[2:3], v[67:68]
	v_fma_f64 v[60:61], v[30:31], s[2:3], v[67:68]
	v_fma_f64 v[46:47], v[46:47], s[2:3], v[67:68]
	v_mov_b32_dpp v52, v96 quad_perm:[0,1,2,3] row_mask:0x5 bank_mask:0xf
	s_waitcnt lgkmcnt(10)
	v_mov_b32_dpp v53, v97 quad_perm:[0,1,2,3] row_mask:0x5 bank_mask:0xf
	s_waitcnt lgkmcnt(9)
	;; [unrolled: 2-line block ×3, first 2 shown]
	v_mov_b32_dpp v55, v99 quad_perm:[0,1,2,3] row_mask:0x5 bank_mask:0xf
	ds_swizzle_b32 v28, v16 offset:50688
	ds_swizzle_b32 v29, v17 offset:50688
	s_waitcnt lgkmcnt(9)
	v_mov_b32_dpp v0, v58 quad_perm:[0,1,2,3] row_mask:0x5 bank_mask:0xf
	s_waitcnt lgkmcnt(8)
	v_mov_b32_dpp v1, v59 quad_perm:[0,1,2,3] row_mask:0x5 bank_mask:0xf
	;; [unrolled: 2-line block ×8, first 2 shown]
	ds_swizzle_b32 v100, v58 offset:50688
	ds_swizzle_b32 v101, v59 offset:50688
	ds_swizzle_b32 v67, v72 offset:50688
	ds_swizzle_b32 v68, v73 offset:50688
	ds_swizzle_b32 v88, v48 offset:50688
	ds_swizzle_b32 v89, v49 offset:50688
	ds_swizzle_b32 v96, v50 offset:50688
	ds_swizzle_b32 v97, v51 offset:50688
	ds_swizzle_b32 v30, v18 offset:50688
	ds_swizzle_b32 v31, v19 offset:50688
	s_clause 0x2
	global_store_b128 v[76:77], v[52:55], off
	global_store_b128 v[82:83], v[0:3], off
	;; [unrolled: 1-line block ×3, first 2 shown]
	ds_swizzle_b32 v24, v74 offset:50688
	ds_swizzle_b32 v36, v20 offset:50688
	;; [unrolled: 1-line block ×9, first 2 shown]
	v_add_nc_u32_e32 v64, s15, v64
	s_waitcnt lgkmcnt(18)
	v_mov_b32_dpp v32, v100 quad_perm:[0,1,2,3] row_mask:0x5 bank_mask:0xf
	s_waitcnt lgkmcnt(17)
	v_mov_b32_dpp v33, v101 quad_perm:[0,1,2,3] row_mask:0x5 bank_mask:0xf
	;; [unrolled: 2-line block ×6, first 2 shown]
	ds_swizzle_b32 v26, v44 offset:50688
	ds_swizzle_b32 v27, v45 offset:50688
	s_waitcnt lgkmcnt(14)
	v_mov_b32_dpp v14, v96 quad_perm:[0,1,2,3] row_mask:0x5 bank_mask:0xf
	s_waitcnt lgkmcnt(13)
	v_mov_b32_dpp v15, v97 quad_perm:[0,1,2,3] row_mask:0x5 bank_mask:0xf
	v_mov_b32_dpp v28, v84 quad_perm:[0,1,2,3] row_mask:0x5 bank_mask:0xf
	;; [unrolled: 1-line block ×3, first 2 shown]
	s_waitcnt lgkmcnt(12)
	v_mov_b32_dpp v30, v86 quad_perm:[0,1,2,3] row_mask:0x5 bank_mask:0xf
	s_waitcnt lgkmcnt(11)
	v_mov_b32_dpp v31, v87 quad_perm:[0,1,2,3] row_mask:0x5 bank_mask:0xf
	;; [unrolled: 2-line block ×3, first 2 shown]
	ds_swizzle_b32 v24, v62 offset:50688
	ds_swizzle_b32 v25, v75 offset:50688
	v_lshlrev_b64 v[78:79], 3, v[64:65]
	v_add_nc_u32_e32 v64, s15, v64
	s_clause 0x2
	global_store_b128 v[42:43], v[32:35], off
	global_store_b128 v[40:41], v[12:15], off
	;; [unrolled: 1-line block ×3, first 2 shown]
	ds_swizzle_b32 v28, v56 offset:50688
	ds_swizzle_b32 v29, v57 offset:50688
	v_lshlrev_b64 v[80:81], 3, v[64:65]
	v_add_nc_u32_e32 v64, s15, v64
	ds_swizzle_b32 v0, v8 offset:50688
	ds_swizzle_b32 v1, v9 offset:50688
	;; [unrolled: 1-line block ×4, first 2 shown]
	s_waitcnt lgkmcnt(17)
	v_mov_b32_dpp v36, v74 quad_perm:[0,1,2,3] row_mask:0x5 bank_mask:0xf
	s_waitcnt lgkmcnt(16)
	v_mov_b32_dpp v37, v75 quad_perm:[0,1,2,3] row_mask:0x5 bank_mask:0xf
	;; [unrolled: 2-line block ×8, first 2 shown]
	ds_swizzle_b32 v12, v4 offset:50688
	ds_swizzle_b32 v13, v5 offset:50688
	;; [unrolled: 1-line block ×9, first 2 shown]
	s_clause 0x1
	global_store_b128 v[92:93], v[36:39], off
	global_store_b128 v[94:95], v[16:19], off
	v_lshlrev_b64 v[18:19], 3, v[64:65]
	v_add_nc_u32_e32 v64, s15, v64
	v_add_co_u32 v16, vcc_lo, v66, v78
	s_waitcnt lgkmcnt(18)
	v_mov_b32_dpp v22, v26 quad_perm:[0,1,2,3] row_mask:0x5 bank_mask:0xf
	s_waitcnt lgkmcnt(17)
	v_mov_b32_dpp v23, v27 quad_perm:[0,1,2,3] row_mask:0x5 bank_mask:0xf
	v_lshlrev_b64 v[26:27], 3, v[64:65]
	v_add_nc_u32_e32 v64, s15, v64
	v_add_co_ci_u32_e32 v17, vcc_lo, v69, v79, vcc_lo
	s_waitcnt lgkmcnt(16)
	v_mov_b32_dpp v6, v24 quad_perm:[0,1,2,3] row_mask:0x5 bank_mask:0xf
	v_add_co_u32 v24, vcc_lo, v66, v80
	s_waitcnt lgkmcnt(15)
	v_mov_b32_dpp v21, v25 quad_perm:[0,1,2,3] row_mask:0x5 bank_mask:0xf
	v_add_co_ci_u32_e32 v25, vcc_lo, v69, v81, vcc_lo
	s_waitcnt lgkmcnt(14)
	v_mov_b32_dpp v8, v28 quad_perm:[0,1,2,3] row_mask:0x5 bank_mask:0xf
	s_waitcnt lgkmcnt(13)
	v_mov_b32_dpp v9, v29 quad_perm:[0,1,2,3] row_mask:0x5 bank_mask:0xf
	v_add_co_u32 v18, vcc_lo, v66, v18
	v_lshlrev_b64 v[28:29], 3, v[64:65]
	v_add_co_ci_u32_e32 v19, vcc_lo, v69, v19, vcc_lo
	v_add_co_u32 v26, vcc_lo, v66, v26
	s_waitcnt lgkmcnt(12)
	v_mov_b32_dpp v0, v56 quad_perm:[0,1,2,3] row_mask:0x5 bank_mask:0xf
	s_waitcnt lgkmcnt(11)
	v_mov_b32_dpp v1, v57 quad_perm:[0,1,2,3] row_mask:0x5 bank_mask:0xf
	;; [unrolled: 2-line block ×4, first 2 shown]
	v_add_co_ci_u32_e32 v27, vcc_lo, v69, v27, vcc_lo
	s_waitcnt lgkmcnt(8)
	v_mov_b32_dpp v12, v46 quad_perm:[0,1,2,3] row_mask:0x5 bank_mask:0xf
	s_waitcnt lgkmcnt(7)
	v_mov_b32_dpp v13, v47 quad_perm:[0,1,2,3] row_mask:0x5 bank_mask:0xf
	;; [unrolled: 2-line block ×4, first 2 shown]
	v_add_co_u32 v28, vcc_lo, v66, v28
	s_waitcnt lgkmcnt(4)
	v_mov_b32_dpp v10, v30 quad_perm:[0,1,2,3] row_mask:0x5 bank_mask:0xf
	s_waitcnt lgkmcnt(3)
	v_mov_b32_dpp v11, v31 quad_perm:[0,1,2,3] row_mask:0x5 bank_mask:0xf
	;; [unrolled: 2-line block ×5, first 2 shown]
	v_add_co_ci_u32_e32 v29, vcc_lo, v69, v29, vcc_lo
	s_clause 0x4
	global_store_b128 v[16:17], v[20:23], off
	global_store_b128 v[24:25], v[0:3], off
	;; [unrolled: 1-line block ×5, first 2 shown]
.LBB0_5:
	s_nop 0
	s_sendmsg sendmsg(MSG_DEALLOC_VGPRS)
	s_endpgm
	.section	.rodata,"a",@progbits
	.p2align	6, 0x0
	.amdhsa_kernel _Z14gemm_rocwmma_djjjPKdS0_S0_Pdjjjjdd
		.amdhsa_group_segment_fixed_size 0
		.amdhsa_private_segment_fixed_size 0
		.amdhsa_kernarg_size 80
		.amdhsa_user_sgpr_count 14
		.amdhsa_user_sgpr_dispatch_ptr 0
		.amdhsa_user_sgpr_queue_ptr 0
		.amdhsa_user_sgpr_kernarg_segment_ptr 1
		.amdhsa_user_sgpr_dispatch_id 0
		.amdhsa_user_sgpr_private_segment_size 0
		.amdhsa_wavefront_size32 1
		.amdhsa_uses_dynamic_stack 0
		.amdhsa_enable_private_segment 0
		.amdhsa_system_sgpr_workgroup_id_x 1
		.amdhsa_system_sgpr_workgroup_id_y 1
		.amdhsa_system_sgpr_workgroup_id_z 0
		.amdhsa_system_sgpr_workgroup_info 0
		.amdhsa_system_vgpr_workitem_id 1
		.amdhsa_next_free_vgpr 102
		.amdhsa_next_free_sgpr 24
		.amdhsa_reserve_vcc 1
		.amdhsa_float_round_mode_32 0
		.amdhsa_float_round_mode_16_64 0
		.amdhsa_float_denorm_mode_32 3
		.amdhsa_float_denorm_mode_16_64 3
		.amdhsa_dx10_clamp 1
		.amdhsa_ieee_mode 1
		.amdhsa_fp16_overflow 0
		.amdhsa_workgroup_processor_mode 1
		.amdhsa_memory_ordered 1
		.amdhsa_forward_progress 0
		.amdhsa_shared_vgpr_count 0
		.amdhsa_exception_fp_ieee_invalid_op 0
		.amdhsa_exception_fp_denorm_src 0
		.amdhsa_exception_fp_ieee_div_zero 0
		.amdhsa_exception_fp_ieee_overflow 0
		.amdhsa_exception_fp_ieee_underflow 0
		.amdhsa_exception_fp_ieee_inexact 0
		.amdhsa_exception_int_div_zero 0
	.end_amdhsa_kernel
	.text
.Lfunc_end0:
	.size	_Z14gemm_rocwmma_djjjPKdS0_S0_Pdjjjjdd, .Lfunc_end0-_Z14gemm_rocwmma_djjjPKdS0_S0_Pdjjjjdd
                                        ; -- End function
	.section	.AMDGPU.csdata,"",@progbits
; Kernel info:
; codeLenInByte = 4768
; NumSgprs: 26
; NumVgprs: 102
; ScratchSize: 0
; MemoryBound: 1
; FloatMode: 240
; IeeeMode: 1
; LDSByteSize: 0 bytes/workgroup (compile time only)
; SGPRBlocks: 3
; VGPRBlocks: 12
; NumSGPRsForWavesPerEU: 26
; NumVGPRsForWavesPerEU: 102
; Occupancy: 12
; WaveLimiterHint : 0
; COMPUTE_PGM_RSRC2:SCRATCH_EN: 0
; COMPUTE_PGM_RSRC2:USER_SGPR: 14
; COMPUTE_PGM_RSRC2:TRAP_HANDLER: 0
; COMPUTE_PGM_RSRC2:TGID_X_EN: 1
; COMPUTE_PGM_RSRC2:TGID_Y_EN: 1
; COMPUTE_PGM_RSRC2:TGID_Z_EN: 0
; COMPUTE_PGM_RSRC2:TIDIG_COMP_CNT: 1
	.text
	.p2alignl 7, 3214868480
	.fill 96, 4, 3214868480
	.type	__hip_cuid_e2ea7b9b24c2d85d,@object ; @__hip_cuid_e2ea7b9b24c2d85d
	.section	.bss,"aw",@nobits
	.globl	__hip_cuid_e2ea7b9b24c2d85d
__hip_cuid_e2ea7b9b24c2d85d:
	.byte	0                               ; 0x0
	.size	__hip_cuid_e2ea7b9b24c2d85d, 1

	.ident	"AMD clang version 19.0.0git (https://github.com/RadeonOpenCompute/llvm-project roc-6.4.0 25133 c7fe45cf4b819c5991fe208aaa96edf142730f1d)"
	.section	".note.GNU-stack","",@progbits
	.addrsig
	.addrsig_sym __hip_cuid_e2ea7b9b24c2d85d
	.amdgpu_metadata
---
amdhsa.kernels:
  - .args:
      - .offset:         0
        .size:           4
        .value_kind:     by_value
      - .offset:         4
        .size:           4
        .value_kind:     by_value
      - .offset:         8
        .size:           4
        .value_kind:     by_value
      - .address_space:  global
        .offset:         16
        .size:           8
        .value_kind:     global_buffer
      - .address_space:  global
        .offset:         24
        .size:           8
        .value_kind:     global_buffer
      - .address_space:  global
        .offset:         32
        .size:           8
        .value_kind:     global_buffer
      - .address_space:  global
        .offset:         40
        .size:           8
        .value_kind:     global_buffer
      - .offset:         48
        .size:           4
        .value_kind:     by_value
      - .offset:         52
        .size:           4
        .value_kind:     by_value
      - .offset:         56
        .size:           4
        .value_kind:     by_value
      - .offset:         60
        .size:           4
        .value_kind:     by_value
      - .offset:         64
        .size:           8
        .value_kind:     by_value
      - .offset:         72
        .size:           8
        .value_kind:     by_value
    .group_segment_fixed_size: 0
    .kernarg_segment_align: 8
    .kernarg_segment_size: 80
    .language:       OpenCL C
    .language_version:
      - 2
      - 0
    .max_flat_workgroup_size: 256
    .name:           _Z14gemm_rocwmma_djjjPKdS0_S0_Pdjjjjdd
    .private_segment_fixed_size: 0
    .sgpr_count:     26
    .sgpr_spill_count: 0
    .symbol:         _Z14gemm_rocwmma_djjjPKdS0_S0_Pdjjjjdd.kd
    .uniform_work_group_size: 1
    .uses_dynamic_stack: false
    .vgpr_count:     102
    .vgpr_spill_count: 0
    .wavefront_size: 32
    .workgroup_processor_mode: 1
amdhsa.target:   amdgcn-amd-amdhsa--gfx1100
amdhsa.version:
  - 1
  - 2
...

	.end_amdgpu_metadata
